;; amdgpu-corpus repo=ROCm/rocFFT kind=compiled arch=gfx906 opt=O3
	.text
	.amdgcn_target "amdgcn-amd-amdhsa--gfx906"
	.amdhsa_code_object_version 6
	.protected	fft_rtc_back_len363_factors_11_3_11_wgs_99_tpt_33_halfLds_sp_ip_CI_unitstride_sbrr_dirReg ; -- Begin function fft_rtc_back_len363_factors_11_3_11_wgs_99_tpt_33_halfLds_sp_ip_CI_unitstride_sbrr_dirReg
	.globl	fft_rtc_back_len363_factors_11_3_11_wgs_99_tpt_33_halfLds_sp_ip_CI_unitstride_sbrr_dirReg
	.p2align	8
	.type	fft_rtc_back_len363_factors_11_3_11_wgs_99_tpt_33_halfLds_sp_ip_CI_unitstride_sbrr_dirReg,@function
fft_rtc_back_len363_factors_11_3_11_wgs_99_tpt_33_halfLds_sp_ip_CI_unitstride_sbrr_dirReg: ; @fft_rtc_back_len363_factors_11_3_11_wgs_99_tpt_33_halfLds_sp_ip_CI_unitstride_sbrr_dirReg
; %bb.0:
	v_mul_u32_u24_e32 v1, 0x7c2, v0
	s_load_dwordx2 s[2:3], s[4:5], 0x50
	s_load_dwordx4 s[8:11], s[4:5], 0x0
	s_load_dwordx2 s[12:13], s[4:5], 0x18
	v_lshrrev_b32_e32 v1, 16, v1
	v_mad_u64_u32 v[6:7], s[0:1], s6, 3, v[1:2]
	v_mov_b32_e32 v3, 0
	s_waitcnt lgkmcnt(0)
	v_cmp_lt_u64_e64 s[0:1], s[10:11], 2
	v_mov_b32_e32 v7, v3
	v_mov_b32_e32 v1, 0
	;; [unrolled: 1-line block ×3, first 2 shown]
	s_and_b64 vcc, exec, s[0:1]
	v_mov_b32_e32 v2, 0
	v_mov_b32_e32 v5, v7
	s_cbranch_vccnz .LBB0_8
; %bb.1:
	s_load_dwordx2 s[0:1], s[4:5], 0x10
	s_add_u32 s6, s12, 8
	s_addc_u32 s7, s13, 0
	v_mov_b32_e32 v1, 0
	v_mov_b32_e32 v8, v7
	s_waitcnt lgkmcnt(0)
	s_add_u32 s16, s0, 8
	s_mov_b64 s[14:15], 1
	v_mov_b32_e32 v2, 0
	s_addc_u32 s17, s1, 0
	v_mov_b32_e32 v7, v6
.LBB0_2:                                ; =>This Inner Loop Header: Depth=1
	s_load_dwordx2 s[18:19], s[16:17], 0x0
	s_waitcnt lgkmcnt(0)
	v_or_b32_e32 v4, s19, v8
	v_cmp_ne_u64_e32 vcc, 0, v[3:4]
                                        ; implicit-def: $vgpr4_vgpr5
	s_and_saveexec_b64 s[0:1], vcc
	s_xor_b64 s[20:21], exec, s[0:1]
	s_cbranch_execz .LBB0_4
; %bb.3:                                ;   in Loop: Header=BB0_2 Depth=1
	v_cvt_f32_u32_e32 v4, s18
	v_cvt_f32_u32_e32 v5, s19
	s_sub_u32 s0, 0, s18
	s_subb_u32 s1, 0, s19
	v_mac_f32_e32 v4, 0x4f800000, v5
	v_rcp_f32_e32 v4, v4
	v_mul_f32_e32 v4, 0x5f7ffffc, v4
	v_mul_f32_e32 v5, 0x2f800000, v4
	v_trunc_f32_e32 v5, v5
	v_mac_f32_e32 v4, 0xcf800000, v5
	v_cvt_u32_f32_e32 v5, v5
	v_cvt_u32_f32_e32 v4, v4
	v_mul_lo_u32 v9, s0, v5
	v_mul_hi_u32 v10, s0, v4
	v_mul_lo_u32 v12, s1, v4
	v_mul_lo_u32 v11, s0, v4
	v_add_u32_e32 v9, v10, v9
	v_add_u32_e32 v9, v9, v12
	v_mul_hi_u32 v10, v4, v11
	v_mul_lo_u32 v12, v4, v9
	v_mul_hi_u32 v14, v4, v9
	v_mul_hi_u32 v13, v5, v11
	v_mul_lo_u32 v11, v5, v11
	v_mul_hi_u32 v15, v5, v9
	v_add_co_u32_e32 v10, vcc, v10, v12
	v_addc_co_u32_e32 v12, vcc, 0, v14, vcc
	v_mul_lo_u32 v9, v5, v9
	v_add_co_u32_e32 v10, vcc, v10, v11
	v_addc_co_u32_e32 v10, vcc, v12, v13, vcc
	v_addc_co_u32_e32 v11, vcc, 0, v15, vcc
	v_add_co_u32_e32 v9, vcc, v10, v9
	v_addc_co_u32_e32 v10, vcc, 0, v11, vcc
	v_add_co_u32_e32 v4, vcc, v4, v9
	v_addc_co_u32_e32 v5, vcc, v5, v10, vcc
	v_mul_lo_u32 v9, s0, v5
	v_mul_hi_u32 v10, s0, v4
	v_mul_lo_u32 v11, s1, v4
	v_mul_lo_u32 v12, s0, v4
	v_add_u32_e32 v9, v10, v9
	v_add_u32_e32 v9, v9, v11
	v_mul_lo_u32 v13, v4, v9
	v_mul_hi_u32 v14, v4, v12
	v_mul_hi_u32 v15, v4, v9
	;; [unrolled: 1-line block ×3, first 2 shown]
	v_mul_lo_u32 v12, v5, v12
	v_mul_hi_u32 v10, v5, v9
	v_add_co_u32_e32 v13, vcc, v14, v13
	v_addc_co_u32_e32 v14, vcc, 0, v15, vcc
	v_mul_lo_u32 v9, v5, v9
	v_add_co_u32_e32 v12, vcc, v13, v12
	v_addc_co_u32_e32 v11, vcc, v14, v11, vcc
	v_addc_co_u32_e32 v10, vcc, 0, v10, vcc
	v_add_co_u32_e32 v9, vcc, v11, v9
	v_addc_co_u32_e32 v10, vcc, 0, v10, vcc
	v_add_co_u32_e32 v9, vcc, v4, v9
	v_addc_co_u32_e32 v10, vcc, v5, v10, vcc
	v_mad_u64_u32 v[4:5], s[0:1], v7, v10, 0
	v_mul_hi_u32 v11, v7, v9
	v_add_co_u32_e32 v11, vcc, v11, v4
	v_addc_co_u32_e32 v12, vcc, 0, v5, vcc
	v_mad_u64_u32 v[4:5], s[0:1], v8, v9, 0
	v_mad_u64_u32 v[9:10], s[0:1], v8, v10, 0
	v_add_co_u32_e32 v4, vcc, v11, v4
	v_addc_co_u32_e32 v4, vcc, v12, v5, vcc
	v_addc_co_u32_e32 v5, vcc, 0, v10, vcc
	v_add_co_u32_e32 v9, vcc, v4, v9
	v_addc_co_u32_e32 v10, vcc, 0, v5, vcc
	v_mul_lo_u32 v11, s19, v9
	v_mul_lo_u32 v12, s18, v10
	v_mad_u64_u32 v[4:5], s[0:1], s18, v9, 0
	v_add3_u32 v5, v5, v12, v11
	v_sub_u32_e32 v11, v8, v5
	v_mov_b32_e32 v12, s19
	v_sub_co_u32_e32 v4, vcc, v7, v4
	v_subb_co_u32_e64 v11, s[0:1], v11, v12, vcc
	v_subrev_co_u32_e64 v12, s[0:1], s18, v4
	v_subbrev_co_u32_e64 v11, s[0:1], 0, v11, s[0:1]
	v_cmp_le_u32_e64 s[0:1], s19, v11
	v_cndmask_b32_e64 v13, 0, -1, s[0:1]
	v_cmp_le_u32_e64 s[0:1], s18, v12
	v_cndmask_b32_e64 v12, 0, -1, s[0:1]
	v_cmp_eq_u32_e64 s[0:1], s19, v11
	v_cndmask_b32_e64 v11, v13, v12, s[0:1]
	v_add_co_u32_e64 v12, s[0:1], 2, v9
	v_addc_co_u32_e64 v13, s[0:1], 0, v10, s[0:1]
	v_add_co_u32_e64 v14, s[0:1], 1, v9
	v_addc_co_u32_e64 v15, s[0:1], 0, v10, s[0:1]
	v_subb_co_u32_e32 v5, vcc, v8, v5, vcc
	v_cmp_ne_u32_e64 s[0:1], 0, v11
	v_cmp_le_u32_e32 vcc, s19, v5
	v_cndmask_b32_e64 v11, v15, v13, s[0:1]
	v_cndmask_b32_e64 v13, 0, -1, vcc
	v_cmp_le_u32_e32 vcc, s18, v4
	v_cndmask_b32_e64 v4, 0, -1, vcc
	v_cmp_eq_u32_e32 vcc, s19, v5
	v_cndmask_b32_e32 v4, v13, v4, vcc
	v_cmp_ne_u32_e32 vcc, 0, v4
	v_cndmask_b32_e64 v4, v14, v12, s[0:1]
	v_cndmask_b32_e32 v5, v10, v11, vcc
	v_cndmask_b32_e32 v4, v9, v4, vcc
.LBB0_4:                                ;   in Loop: Header=BB0_2 Depth=1
	s_andn2_saveexec_b64 s[0:1], s[20:21]
	s_cbranch_execz .LBB0_6
; %bb.5:                                ;   in Loop: Header=BB0_2 Depth=1
	v_cvt_f32_u32_e32 v4, s18
	s_sub_i32 s20, 0, s18
	v_rcp_iflag_f32_e32 v4, v4
	v_mul_f32_e32 v4, 0x4f7ffffe, v4
	v_cvt_u32_f32_e32 v4, v4
	v_mul_lo_u32 v5, s20, v4
	v_mul_hi_u32 v5, v4, v5
	v_add_u32_e32 v4, v4, v5
	v_mul_hi_u32 v4, v7, v4
	v_mul_lo_u32 v5, v4, s18
	v_add_u32_e32 v9, 1, v4
	v_sub_u32_e32 v5, v7, v5
	v_subrev_u32_e32 v10, s18, v5
	v_cmp_le_u32_e32 vcc, s18, v5
	v_cndmask_b32_e32 v5, v5, v10, vcc
	v_cndmask_b32_e32 v4, v4, v9, vcc
	v_add_u32_e32 v9, 1, v4
	v_cmp_le_u32_e32 vcc, s18, v5
	v_cndmask_b32_e32 v4, v4, v9, vcc
	v_mov_b32_e32 v5, v3
.LBB0_6:                                ;   in Loop: Header=BB0_2 Depth=1
	s_or_b64 exec, exec, s[0:1]
	v_mul_lo_u32 v11, v5, s18
	v_mul_lo_u32 v12, v4, s19
	v_mad_u64_u32 v[9:10], s[0:1], v4, s18, 0
	s_load_dwordx2 s[0:1], s[6:7], 0x0
	s_add_u32 s14, s14, 1
	v_add3_u32 v10, v10, v12, v11
	v_sub_co_u32_e32 v7, vcc, v7, v9
	v_subb_co_u32_e32 v8, vcc, v8, v10, vcc
	s_waitcnt lgkmcnt(0)
	v_mul_lo_u32 v8, s0, v8
	v_mul_lo_u32 v9, s1, v7
	v_mad_u64_u32 v[1:2], s[0:1], s0, v7, v[1:2]
	s_addc_u32 s15, s15, 0
	s_add_u32 s6, s6, 8
	v_add3_u32 v2, v9, v2, v8
	v_mov_b32_e32 v7, s10
	v_mov_b32_e32 v8, s11
	s_addc_u32 s7, s7, 0
	v_cmp_ge_u64_e32 vcc, s[14:15], v[7:8]
	s_add_u32 s16, s16, 8
	s_addc_u32 s17, s17, 0
	s_cbranch_vccnz .LBB0_8
; %bb.7:                                ;   in Loop: Header=BB0_2 Depth=1
	v_mov_b32_e32 v8, v5
	v_mov_b32_e32 v7, v4
	s_branch .LBB0_2
.LBB0_8:
	s_lshl_b64 s[0:1], s[10:11], 3
	s_add_u32 s0, s12, s0
	s_addc_u32 s1, s13, s1
	s_load_dwordx2 s[6:7], s[0:1], 0x0
	s_load_dwordx2 s[10:11], s[4:5], 0x20
                                        ; implicit-def: $vgpr24
                                        ; implicit-def: $vgpr20
                                        ; implicit-def: $vgpr16
                                        ; implicit-def: $vgpr12
                                        ; implicit-def: $vgpr28
                                        ; implicit-def: $vgpr26
                                        ; implicit-def: $vgpr18
                                        ; implicit-def: $vgpr14
                                        ; implicit-def: $vgpr10
	s_waitcnt lgkmcnt(0)
	v_mad_u64_u32 v[7:8], s[0:1], s6, v4, v[1:2]
	v_mul_lo_u32 v3, s6, v5
	v_mul_lo_u32 v9, s7, v4
	s_mov_b32 s0, 0x7c1f07d
	v_mul_hi_u32 v1, v0, s0
	v_cmp_gt_u64_e32 vcc, s[10:11], v[4:5]
	v_add3_u32 v8, v9, v8, v3
	v_mov_b32_e32 v2, 0
	v_mul_u32_u24_e32 v1, 33, v1
	v_mov_b32_e32 v3, 0
	v_sub_u32_e32 v4, v0, v1
	v_lshlrev_b64 v[0:1], 3, v[7:8]
	v_mov_b32_e32 v22, v3
	v_mov_b32_e32 v21, v2
                                        ; implicit-def: $vgpr8
	s_and_saveexec_b64 s[4:5], vcc
	s_cbranch_execz .LBB0_10
; %bb.9:
	v_mov_b32_e32 v5, 0
	v_mov_b32_e32 v2, s3
	v_add_co_u32_e64 v7, s[0:1], s2, v0
	v_addc_co_u32_e64 v8, s[0:1], v2, v1, s[0:1]
	v_lshlrev_b64 v[2:3], 3, v[4:5]
	v_add_co_u32_e64 v2, s[0:1], v7, v2
	v_addc_co_u32_e64 v3, s[0:1], v8, v3, s[0:1]
	global_load_dwordx2 v[21:22], v[2:3], off
	global_load_dwordx2 v[23:24], v[2:3], off offset:264
	global_load_dwordx2 v[19:20], v[2:3], off offset:528
	;; [unrolled: 1-line block ×10, first 2 shown]
	v_mov_b32_e32 v2, v4
	v_mov_b32_e32 v3, v5
.LBB0_10:
	s_or_b64 exec, exec, s[4:5]
	s_mov_b32 s0, 0xaaaaaaab
	v_mul_hi_u32 v5, v6, s0
	s_waitcnt vmcnt(0)
	v_sub_f32_e32 v30, v24, v28
	v_add_f32_e32 v29, v23, v27
	v_mul_f32_e32 v31, 0xbf0a6770, v30
	v_lshrrev_b32_e32 v5, 1, v5
	v_lshl_add_u32 v5, v5, 1, v5
	s_mov_b32 s7, 0x3f575c64
	v_sub_f32_e32 v34, v20, v26
	v_sub_u32_e32 v32, v6, v5
	v_fma_f32 v5, v29, s7, -v31
	s_mov_b32 s6, 0x3ed4b147
	v_add_f32_e32 v33, v19, v25
	v_mul_f32_e32 v35, 0xbf68dda4, v34
	v_add_f32_e32 v5, v5, v21
	v_fma_f32 v6, v33, s6, -v35
	v_mul_f32_e32 v36, 0xbf68dda4, v30
	v_add_f32_e32 v5, v6, v5
	v_fma_f32 v6, v29, s6, -v36
	s_mov_b32 s11, 0xbf27a4f4
	v_mul_f32_e32 v38, 0xbf4178ce, v34
	v_add_f32_e32 v6, v6, v21
	v_fma_f32 v37, v33, s11, -v38
	v_sub_f32_e32 v40, v16, v18
	v_fmac_f32_e32 v31, 0x3f575c64, v29
	v_add_f32_e32 v6, v37, v6
	s_mov_b32 s10, 0xbe11bafb
	v_add_f32_e32 v39, v15, v17
	v_mul_f32_e32 v37, 0xbf7d64f0, v40
	v_add_f32_e32 v31, v31, v21
	v_fmac_f32_e32 v35, 0x3ed4b147, v33
	v_fma_f32 v41, v39, s10, -v37
	v_add_f32_e32 v31, v35, v31
	v_fmac_f32_e32 v37, 0xbe11bafb, v39
	v_add_f32_e32 v31, v37, v31
	v_mul_u32_u24_e32 v37, 0x16b, v32
	v_add_f32_e32 v32, v23, v21
	v_add_f32_e32 v32, v19, v32
	s_mov_b32 s12, 0xbf75a155
	v_mul_f32_e32 v42, 0x3e903f40, v40
	v_add_f32_e32 v32, v15, v32
	v_add_f32_e32 v5, v41, v5
	v_fma_f32 v41, v39, s12, -v42
	v_sub_f32_e32 v44, v12, v14
	v_add_f32_e32 v32, v11, v32
	v_add_f32_e32 v6, v41, v6
	;; [unrolled: 1-line block ×3, first 2 shown]
	v_mul_f32_e32 v41, 0xbf4178ce, v44
	v_add_f32_e32 v32, v7, v32
	v_fma_f32 v45, v43, s11, -v41
	v_add_f32_e32 v32, v9, v32
	v_add_f32_e32 v5, v45, v5
	v_mul_f32_e32 v45, 0x3f7d64f0, v44
	v_sub_f32_e32 v48, v8, v10
	v_add_f32_e32 v32, v13, v32
	v_fma_f32 v46, v43, s10, -v45
	v_add_f32_e32 v47, v7, v9
	v_mul_f32_e32 v49, 0xbe903f40, v48
	v_fmac_f32_e32 v41, 0xbf27a4f4, v43
	v_add_f32_e32 v32, v17, v32
	v_add_f32_e32 v46, v46, v6
	v_fma_f32 v6, v47, s12, -v49
	v_add_f32_e32 v31, v41, v31
	v_fmac_f32_e32 v49, 0xbf75a155, v47
	v_add_f32_e32 v32, v25, v32
	v_lshl_add_u32 v35, v37, 2, 0
	v_add_f32_e32 v31, v49, v31
	v_add_f32_e32 v32, v27, v32
	v_mad_u32_u24 v41, v4, 44, v35
	v_fmac_f32_e32 v36, 0x3ed4b147, v29
	v_mul_f32_e32 v50, 0x3f0a6770, v48
	ds_write2_b32 v41, v32, v31 offset1:1
	v_add_f32_e32 v31, v36, v21
	v_fmac_f32_e32 v38, 0xbf27a4f4, v33
	v_mul_f32_e32 v32, 0xbf7d64f0, v30
	v_add_f32_e32 v6, v6, v5
	v_fma_f32 v5, v47, s7, -v50
	v_add_f32_e32 v31, v38, v31
	v_mov_b32_e32 v36, v32
	v_mul_f32_e32 v38, 0x3e903f40, v34
	v_add_f32_e32 v5, v5, v46
	v_fmac_f32_e32 v36, 0xbe11bafb, v29
	v_mov_b32_e32 v46, v38
	v_fmac_f32_e32 v42, 0xbf75a155, v39
	v_add_f32_e32 v36, v36, v21
	v_fmac_f32_e32 v46, 0xbf75a155, v33
	v_add_f32_e32 v31, v42, v31
	v_mul_f32_e32 v42, 0x3f68dda4, v40
	v_add_f32_e32 v36, v46, v36
	v_mov_b32_e32 v46, v42
	v_fmac_f32_e32 v45, 0xbe11bafb, v43
	v_fmac_f32_e32 v46, 0x3ed4b147, v39
	v_add_f32_e32 v31, v45, v31
	v_mul_f32_e32 v45, 0xbf0a6770, v44
	v_add_f32_e32 v36, v46, v36
	v_mov_b32_e32 v46, v45
	v_fmac_f32_e32 v46, 0x3f575c64, v43
	v_add_f32_e32 v36, v46, v36
	v_mul_f32_e32 v46, 0xbf4178ce, v48
	v_mov_b32_e32 v49, v46
	v_fmac_f32_e32 v50, 0x3f575c64, v47
	v_fmac_f32_e32 v49, 0xbf27a4f4, v47
	v_add_f32_e32 v31, v50, v31
	v_add_f32_e32 v36, v49, v36
	ds_write2_b32 v41, v31, v36 offset0:2 offset1:3
	v_mul_f32_e32 v31, 0xbf4178ce, v30
	v_mov_b32_e32 v36, v31
	v_mul_f32_e32 v49, 0x3f7d64f0, v34
	v_fmac_f32_e32 v36, 0xbf27a4f4, v29
	v_mov_b32_e32 v50, v49
	v_add_f32_e32 v36, v36, v21
	v_fmac_f32_e32 v50, 0xbe11bafb, v33
	v_mul_f32_e32 v30, 0xbe903f40, v30
	v_add_f32_e32 v36, v50, v36
	v_mov_b32_e32 v50, v30
	v_mul_f32_e32 v34, 0x3f0a6770, v34
	v_fmac_f32_e32 v50, 0xbf75a155, v29
	v_mov_b32_e32 v51, v34
	v_add_f32_e32 v50, v50, v21
	v_fmac_f32_e32 v51, 0x3f575c64, v33
	v_add_f32_e32 v50, v51, v50
	v_mul_f32_e32 v51, 0xbf0a6770, v40
	v_mov_b32_e32 v52, v51
	v_fmac_f32_e32 v52, 0x3f575c64, v39
	v_mul_f32_e32 v40, 0xbf4178ce, v40
	v_add_f32_e32 v36, v52, v36
	v_mov_b32_e32 v52, v40
	v_fmac_f32_e32 v52, 0xbf27a4f4, v39
	v_add_f32_e32 v50, v52, v50
	v_mul_f32_e32 v52, 0xbe903f40, v44
	v_mov_b32_e32 v53, v52
	v_fmac_f32_e32 v53, 0xbf75a155, v43
	v_mul_f32_e32 v44, 0x3f68dda4, v44
	v_add_f32_e32 v36, v53, v36
	v_mov_b32_e32 v53, v44
	;; [unrolled: 8-line block ×3, first 2 shown]
	v_fmac_f32_e32 v54, 0xbe11bafb, v47
	v_add_f32_e32 v50, v54, v50
	v_fma_f32 v31, v29, s11, -v31
	v_fma_f32 v30, v29, s12, -v30
	ds_write2_b32 v41, v36, v50 offset0:4 offset1:5
	v_add_f32_e32 v31, v31, v21
	v_fma_f32 v36, v33, s10, -v49
	v_add_f32_e32 v30, v30, v21
	v_fma_f32 v34, v33, s7, -v34
	v_add_f32_e32 v31, v36, v31
	v_add_f32_e32 v30, v34, v30
	v_fma_f32 v34, v39, s7, -v51
	v_add_f32_e32 v31, v34, v31
	v_fma_f32 v34, v39, s11, -v40
	;; [unrolled: 2-line block ×7, first 2 shown]
	ds_write2_b32 v41, v30, v31 offset0:6 offset1:7
	v_fma_f32 v30, v33, s12, -v38
	v_add_f32_e32 v21, v29, v21
	v_add_f32_e32 v21, v30, v21
	v_fma_f32 v29, v39, s6, -v42
	v_add_f32_e32 v21, v29, v21
	v_fma_f32 v29, v43, s7, -v45
	;; [unrolled: 2-line block ×3, first 2 shown]
	v_add_f32_e32 v21, v29, v21
	s_movk_i32 s0, 0xffd8
	ds_write2_b32 v41, v21, v5 offset0:8 offset1:9
	ds_write_b32 v41, v6 offset:40
	v_lshl_add_u32 v21, v4, 2, v35
	v_mad_i32_i24 v38, v4, s0, v41
	s_waitcnt lgkmcnt(0)
	s_barrier
	ds_read_b32 v39, v21
	v_add_u32_e32 v42, 0x400, v38
	ds_read2_b32 v[35:36], v38 offset0:121 offset1:154
	ds_read2_b32 v[31:32], v38 offset0:187 offset1:242
	;; [unrolled: 1-line block ×4, first 2 shown]
	v_cmp_gt_u32_e64 s[0:1], 22, v4
                                        ; implicit-def: $vgpr40
	s_and_saveexec_b64 s[4:5], s[0:1]
	s_cbranch_execz .LBB0_12
; %bb.11:
	ds_read2_b32 v[5:6], v38 offset0:99 offset1:220
	ds_read_b32 v40, v38 offset:1364
.LBB0_12:
	s_or_b64 exec, exec, s[4:5]
	v_add_f32_e32 v43, v24, v22
	v_add_f32_e32 v43, v20, v43
	v_add_f32_e32 v43, v16, v43
	v_add_f32_e32 v43, v12, v43
	v_add_f32_e32 v43, v8, v43
	v_add_f32_e32 v43, v10, v43
	v_add_f32_e32 v43, v14, v43
	v_add_f32_e32 v43, v18, v43
	v_sub_f32_e32 v23, v23, v27
	v_add_f32_e32 v43, v26, v43
	v_add_f32_e32 v24, v24, v28
	v_mul_f32_e32 v27, 0xbf0a6770, v23
	v_mul_f32_e32 v44, 0xbf68dda4, v23
	;; [unrolled: 1-line block ×5, first 2 shown]
	v_add_f32_e32 v43, v28, v43
	v_fma_f32 v28, v24, s7, -v27
	v_fmac_f32_e32 v27, 0x3f575c64, v24
	v_fma_f32 v45, v24, s6, -v44
	v_fmac_f32_e32 v44, 0x3ed4b147, v24
	;; [unrolled: 2-line block ×5, first 2 shown]
	v_sub_f32_e32 v19, v19, v25
	v_add_f32_e32 v28, v28, v22
	v_add_f32_e32 v27, v27, v22
	v_add_f32_e32 v45, v45, v22
	v_add_f32_e32 v44, v44, v22
	v_add_f32_e32 v47, v47, v22
	v_add_f32_e32 v46, v46, v22
	v_add_f32_e32 v49, v49, v22
	v_add_f32_e32 v48, v48, v22
	v_add_f32_e32 v50, v50, v22
	v_add_f32_e32 v22, v23, v22
	v_add_f32_e32 v20, v20, v26
	v_mul_f32_e32 v23, 0xbf68dda4, v19
	v_fma_f32 v24, v20, s6, -v23
	v_fmac_f32_e32 v23, 0x3ed4b147, v20
	v_mul_f32_e32 v25, 0xbf4178ce, v19
	v_add_f32_e32 v23, v23, v27
	v_fma_f32 v26, v20, s11, -v25
	v_fmac_f32_e32 v25, 0xbf27a4f4, v20
	v_mul_f32_e32 v27, 0x3e903f40, v19
	v_sub_f32_e32 v15, v15, v17
	v_add_f32_e32 v24, v24, v28
	v_add_f32_e32 v25, v25, v44
	v_fma_f32 v28, v20, s12, -v27
	v_fmac_f32_e32 v27, 0xbf75a155, v20
	v_mul_f32_e32 v44, 0x3f7d64f0, v19
	v_mul_f32_e32 v19, 0x3f0a6770, v19
	v_add_f32_e32 v16, v16, v18
	v_mul_f32_e32 v17, 0xbf7d64f0, v15
	v_add_f32_e32 v26, v26, v45
	v_add_f32_e32 v27, v27, v46
	v_fma_f32 v45, v20, s10, -v44
	v_fmac_f32_e32 v44, 0xbe11bafb, v20
	v_fma_f32 v46, v20, s7, -v19
	v_fmac_f32_e32 v19, 0x3f575c64, v20
	;; [unrolled: 2-line block ×3, first 2 shown]
	v_mul_f32_e32 v20, 0x3e903f40, v15
	v_add_f32_e32 v19, v19, v22
	v_add_f32_e32 v17, v17, v23
	v_fma_f32 v22, v16, s12, -v20
	v_fmac_f32_e32 v20, 0xbf75a155, v16
	v_mul_f32_e32 v23, 0x3f68dda4, v15
	v_sub_f32_e32 v11, v11, v13
	v_add_f32_e32 v18, v18, v24
	v_add_f32_e32 v20, v20, v25
	v_fma_f32 v24, v16, s6, -v23
	v_fmac_f32_e32 v23, 0x3ed4b147, v16
	v_mul_f32_e32 v25, 0xbf0a6770, v15
	v_mul_f32_e32 v15, 0xbf4178ce, v15
	v_add_f32_e32 v12, v12, v14
	v_mul_f32_e32 v13, 0xbf4178ce, v11
	v_add_f32_e32 v22, v22, v26
	v_add_f32_e32 v23, v23, v27
	v_fma_f32 v26, v16, s7, -v25
	v_fmac_f32_e32 v25, 0x3f575c64, v16
	v_fma_f32 v27, v16, s11, -v15
	v_fmac_f32_e32 v15, 0xbf27a4f4, v16
	;; [unrolled: 2-line block ×3, first 2 shown]
	v_mul_f32_e32 v16, 0x3f7d64f0, v11
	v_sub_f32_e32 v9, v7, v9
	v_add_f32_e32 v14, v14, v18
	v_add_f32_e32 v13, v13, v17
	v_fma_f32 v17, v12, s10, -v16
	v_fmac_f32_e32 v16, 0xbe11bafb, v12
	v_mul_f32_e32 v18, 0xbf0a6770, v11
	v_add_f32_e32 v10, v8, v10
	v_mul_f32_e32 v7, 0xbe903f40, v9
	v_add_f32_e32 v15, v15, v19
	v_add_f32_e32 v16, v16, v20
	v_fma_f32 v19, v12, s7, -v18
	v_fmac_f32_e32 v18, 0x3f575c64, v12
	v_mul_f32_e32 v20, 0xbe903f40, v11
	v_mul_f32_e32 v11, 0x3f68dda4, v11
	v_fma_f32 v8, v10, s12, -v7
	v_fmac_f32_e32 v7, 0xbf75a155, v10
	v_add_f32_e32 v17, v17, v22
	v_add_f32_e32 v18, v18, v23
	v_fma_f32 v22, v12, s12, -v20
	v_fmac_f32_e32 v20, 0xbf75a155, v12
	v_fma_f32 v23, v12, s6, -v11
	v_fmac_f32_e32 v11, 0x3ed4b147, v12
	v_add_f32_e32 v12, v8, v14
	v_add_f32_e32 v8, v7, v13
	v_mul_f32_e32 v7, 0x3f0a6770, v9
	v_add_f32_e32 v28, v28, v47
	v_add_f32_e32 v44, v44, v48
	;; [unrolled: 1-line block ×3, first 2 shown]
	v_fma_f32 v13, v10, s7, -v7
	v_fmac_f32_e32 v7, 0x3f575c64, v10
	v_mul_f32_e32 v14, 0xbf4178ce, v9
	v_add_f32_e32 v45, v45, v49
	v_add_f32_e32 v24, v24, v28
	;; [unrolled: 1-line block ×6, first 2 shown]
	v_fma_f32 v15, v10, s11, -v14
	v_fmac_f32_e32 v14, 0xbf27a4f4, v10
	v_mul_f32_e32 v16, 0x3f68dda4, v9
	v_mul_f32_e32 v9, 0xbf7d64f0, v9
	v_add_f32_e32 v26, v26, v45
	v_add_f32_e32 v19, v19, v24
	;; [unrolled: 1-line block ×6, first 2 shown]
	v_fma_f32 v17, v10, s6, -v16
	v_fmac_f32_e32 v16, 0x3ed4b147, v10
	v_fma_f32 v18, v10, s10, -v9
	v_fmac_f32_e32 v9, 0xbe11bafb, v10
	v_add_f32_e32 v22, v22, v26
	v_add_f32_e32 v15, v15, v19
	;; [unrolled: 1-line block ×6, first 2 shown]
	s_waitcnt lgkmcnt(0)
	s_barrier
	ds_write2_b32 v41, v43, v12 offset1:1
	ds_write2_b32 v41, v13, v15 offset0:2 offset1:3
	ds_write2_b32 v41, v17, v18 offset0:4 offset1:5
	;; [unrolled: 1-line block ×4, first 2 shown]
	ds_write_b32 v41, v8 offset:40
	s_waitcnt lgkmcnt(0)
	s_barrier
	ds_read_b32 v18, v21
	ds_read2_b32 v[15:16], v38 offset0:121 offset1:154
	ds_read2_b32 v[11:12], v38 offset0:187 offset1:242
	;; [unrolled: 1-line block ×4, first 2 shown]
                                        ; implicit-def: $vgpr25
	s_and_saveexec_b64 s[4:5], s[0:1]
	s_cbranch_execz .LBB0_14
; %bb.13:
	ds_read2_b32 v[7:8], v38 offset0:99 offset1:220
	ds_read_b32 v25, v38 offset:1364
.LBB0_14:
	s_or_b64 exec, exec, s[4:5]
	s_movk_i32 s4, 0x75
	v_mul_lo_u16_sdwa v17, v4, s4 dst_sel:DWORD dst_unused:UNUSED_PAD src0_sel:BYTE_0 src1_sel:DWORD
	v_add_u16_e32 v20, 33, v4
	v_sub_u16_sdwa v19, v4, v17 dst_sel:DWORD dst_unused:UNUSED_PAD src0_sel:DWORD src1_sel:BYTE_1
	v_mul_lo_u16_sdwa v22, v20, s4 dst_sel:DWORD dst_unused:UNUSED_PAD src0_sel:BYTE_0 src1_sel:DWORD
	v_lshrrev_b16_e32 v19, 1, v19
	v_sub_u16_sdwa v23, v20, v22 dst_sel:DWORD dst_unused:UNUSED_PAD src0_sel:DWORD src1_sel:BYTE_1
	v_and_b32_e32 v19, 0x7f, v19
	v_lshrrev_b16_e32 v23, 1, v23
	v_add_u16_sdwa v17, v19, v17 dst_sel:DWORD dst_unused:UNUSED_PAD src0_sel:DWORD src1_sel:BYTE_1
	v_and_b32_e32 v23, 0x7f, v23
	v_lshrrev_b16_e32 v59, 3, v17
	v_add_u16_sdwa v22, v23, v22 dst_sel:DWORD dst_unused:UNUSED_PAD src0_sel:DWORD src1_sel:BYTE_1
	v_mul_lo_u16_e32 v17, 11, v59
	v_lshrrev_b16_e32 v61, 3, v22
	v_sub_u16_e32 v60, v4, v17
	v_mov_b32_e32 v17, 4
	v_mul_lo_u16_e32 v22, 11, v61
	v_lshlrev_b32_sdwa v19, v17, v60 dst_sel:DWORD dst_unused:UNUSED_PAD src0_sel:DWORD src1_sel:BYTE_0
	v_sub_u16_e32 v62, v20, v22
	v_lshlrev_b32_sdwa v20, v17, v62 dst_sel:DWORD dst_unused:UNUSED_PAD src0_sel:DWORD src1_sel:BYTE_0
	global_load_dwordx4 v[43:46], v19, s[8:9]
	global_load_dwordx4 v[47:50], v20, s[8:9]
	v_add_u16_e32 v19, 0x42, v4
	v_mul_lo_u16_sdwa v20, v19, s4 dst_sel:DWORD dst_unused:UNUSED_PAD src0_sel:BYTE_0 src1_sel:DWORD
	v_sub_u16_sdwa v22, v19, v20 dst_sel:DWORD dst_unused:UNUSED_PAD src0_sel:DWORD src1_sel:BYTE_1
	v_lshrrev_b16_e32 v22, 1, v22
	v_and_b32_e32 v22, 0x7f, v22
	v_add_u16_sdwa v20, v22, v20 dst_sel:DWORD dst_unused:UNUSED_PAD src0_sel:DWORD src1_sel:BYTE_1
	v_lshrrev_b16_e32 v63, 3, v20
	v_mul_lo_u16_e32 v20, 11, v63
	v_add_u16_e32 v22, 0x63, v4
	v_sub_u16_e32 v64, v19, v20
	v_mul_lo_u16_sdwa v19, v22, s4 dst_sel:DWORD dst_unused:UNUSED_PAD src0_sel:BYTE_0 src1_sel:DWORD
	v_sub_u16_sdwa v23, v22, v19 dst_sel:DWORD dst_unused:UNUSED_PAD src0_sel:DWORD src1_sel:BYTE_1
	v_lshrrev_b16_e32 v23, 1, v23
	v_and_b32_e32 v23, 0x7f, v23
	v_add_u16_sdwa v19, v23, v19 dst_sel:DWORD dst_unused:UNUSED_PAD src0_sel:DWORD src1_sel:BYTE_1
	v_lshlrev_b32_sdwa v20, v17, v64 dst_sel:DWORD dst_unused:UNUSED_PAD src0_sel:DWORD src1_sel:BYTE_0
	v_lshrrev_b16_e32 v19, 3, v19
	global_load_dwordx4 v[51:54], v20, s[8:9]
	v_mul_lo_u16_e32 v20, 11, v19
	v_sub_u16_e32 v20, v22, v20
	v_lshlrev_b32_sdwa v17, v17, v20 dst_sel:DWORD dst_unused:UNUSED_PAD src0_sel:DWORD src1_sel:BYTE_0
	global_load_dwordx4 v[55:58], v17, s[8:9]
	s_movk_i32 s6, 0x84
	s_waitcnt vmcnt(0) lgkmcnt(0)
	s_barrier
	v_mul_f32_e32 v41, v15, v44
	v_mul_f32_e32 v42, v12, v46
	;; [unrolled: 1-line block ×8, first 2 shown]
	v_fmac_f32_e32 v41, v35, v43
	v_fmac_f32_e32 v42, v32, v45
	v_fma_f32 v35, v15, v43, -v24
	v_fma_f32 v32, v12, v45, -v44
	v_fmac_f32_e32 v27, v36, v47
	v_fmac_f32_e32 v28, v33, v49
	v_fma_f32 v15, v16, v47, -v46
	v_add_f32_e32 v16, v29, v27
	v_fma_f32 v13, v13, v49, -v48
	v_sub_f32_e32 v33, v15, v13
	v_mul_f32_e32 v17, v11, v52
	v_mul_f32_e32 v50, v31, v52
	;; [unrolled: 1-line block ×6, first 2 shown]
	v_fmac_f32_e32 v17, v31, v51
	v_fmac_f32_e32 v26, v34, v53
	v_fma_f32 v24, v8, v55, -v54
	v_add_f32_e32 v8, v41, v42
	v_fmac_f32_e32 v22, v6, v55
	v_add_f32_e32 v6, v39, v41
	v_add_f32_e32 v34, v30, v17
	;; [unrolled: 1-line block ×3, first 2 shown]
	v_fmac_f32_e32 v39, -0.5, v8
	v_mul_f32_e32 v23, v25, v58
	v_fma_f32 v11, v11, v51, -v50
	v_fma_f32 v12, v14, v53, -v52
	v_sub_f32_e32 v14, v35, v32
	v_add_f32_e32 v31, v27, v28
	v_add_f32_e32 v43, v34, v26
	v_mov_b32_e32 v34, v39
	v_fmac_f32_e32 v30, -0.5, v36
	v_mul_f32_e32 v56, v40, v58
	v_fmac_f32_e32 v23, v40, v57
	v_add_f32_e32 v40, v6, v42
	v_add_f32_e32 v8, v16, v28
	v_fma_f32 v16, -0.5, v31, v29
	v_fmac_f32_e32 v39, 0x3f5db3d7, v14
	v_fmac_f32_e32 v34, 0xbf5db3d7, v14
	v_sub_f32_e32 v6, v11, v12
	v_mov_b32_e32 v14, v30
	v_mov_b32_e32 v44, v16
	v_fmac_f32_e32 v14, 0xbf5db3d7, v6
	v_fmac_f32_e32 v30, 0x3f5db3d7, v6
	v_mov_b32_e32 v6, 2
	v_fmac_f32_e32 v16, 0x3f5db3d7, v33
	v_fmac_f32_e32 v44, 0xbf5db3d7, v33
	v_mad_u32_u24 v31, v59, s6, 0
	v_lshlrev_b32_sdwa v33, v6, v60 dst_sel:DWORD dst_unused:UNUSED_PAD src0_sel:DWORD src1_sel:BYTE_0
	v_lshlrev_b32_e32 v29, 2, v37
	v_add3_u32 v31, v31, v33, v29
	ds_write2_b32 v31, v40, v34 offset1:11
	ds_write_b32 v31, v39 offset:88
	v_mad_u32_u24 v33, v61, s6, 0
	v_lshlrev_b32_sdwa v34, v6, v62 dst_sel:DWORD dst_unused:UNUSED_PAD src0_sel:DWORD src1_sel:BYTE_0
	v_add3_u32 v33, v33, v34, v29
	ds_write2_b32 v33, v8, v44 offset1:11
	ds_write_b32 v33, v16 offset:88
	v_mad_u32_u24 v8, v63, s6, 0
	v_lshlrev_b32_sdwa v16, v6, v64 dst_sel:DWORD dst_unused:UNUSED_PAD src0_sel:DWORD src1_sel:BYTE_0
	v_fma_f32 v25, v25, v57, -v56
	v_add3_u32 v34, v8, v16, v29
	ds_write2_b32 v34, v43, v14 offset1:11
	ds_write_b32 v34, v30 offset:88
	s_and_saveexec_b64 s[4:5], s[0:1]
	s_cbranch_execz .LBB0_16
; %bb.15:
	v_add_f32_e32 v8, v22, v23
	v_fma_f32 v8, -0.5, v8, v5
	v_sub_f32_e32 v14, v24, v25
	v_mov_b32_e32 v16, v8
	v_fmac_f32_e32 v16, 0x3f5db3d7, v14
	v_fmac_f32_e32 v8, 0xbf5db3d7, v14
	v_add_f32_e32 v5, v5, v22
	v_mad_u32_u24 v14, v19, s6, 0
	v_lshlrev_b32_sdwa v6, v6, v20 dst_sel:DWORD dst_unused:UNUSED_PAD src0_sel:DWORD src1_sel:BYTE_0
	v_add_f32_e32 v5, v5, v23
	v_add3_u32 v6, v14, v6, v29
	ds_write2_b32 v6, v5, v8 offset1:11
	ds_write_b32 v6, v16 offset:88
.LBB0_16:
	s_or_b64 exec, exec, s[4:5]
	v_add_f32_e32 v5, v18, v35
	v_add_f32_e32 v30, v5, v32
	;; [unrolled: 1-line block ×3, first 2 shown]
	v_fmac_f32_e32 v18, -0.5, v5
	v_sub_f32_e32 v5, v41, v42
	v_mov_b32_e32 v32, v18
	v_fmac_f32_e32 v32, 0x3f5db3d7, v5
	v_fmac_f32_e32 v18, 0xbf5db3d7, v5
	v_add_f32_e32 v5, v9, v15
	v_add_f32_e32 v35, v5, v13
	;; [unrolled: 1-line block ×3, first 2 shown]
	v_fma_f32 v36, -0.5, v5, v9
	v_sub_f32_e32 v5, v27, v28
	v_mov_b32_e32 v27, v36
	v_fmac_f32_e32 v27, 0x3f5db3d7, v5
	v_fmac_f32_e32 v36, 0xbf5db3d7, v5
	v_add_f32_e32 v5, v10, v11
	v_add_f32_e32 v28, v5, v12
	;; [unrolled: 1-line block ×3, first 2 shown]
	v_fmac_f32_e32 v10, -0.5, v5
	v_sub_f32_e32 v5, v17, v26
	v_mov_b32_e32 v37, v10
	v_fmac_f32_e32 v37, 0x3f5db3d7, v5
	v_fmac_f32_e32 v10, 0xbf5db3d7, v5
	v_lshlrev_b32_e32 v5, 2, v4
	v_add3_u32 v26, 0, v5, v29
	v_add_u32_e32 v11, 0x200, v26
	v_add_u32_e32 v15, 0x400, v26
	s_waitcnt lgkmcnt(0)
	s_barrier
	ds_read_b32 v17, v21
	ds_read2_b32 v[13:14], v38 offset0:33 offset1:66
	ds_read2_b32 v[8:9], v26 offset0:99 offset1:132
	;; [unrolled: 1-line block ×5, first 2 shown]
	s_waitcnt lgkmcnt(0)
	s_barrier
	ds_write2_b32 v31, v30, v32 offset1:11
	ds_write_b32 v31, v18 offset:88
	ds_write2_b32 v33, v35, v27 offset1:11
	ds_write_b32 v33, v36 offset:88
	;; [unrolled: 2-line block ×3, first 2 shown]
	s_and_saveexec_b64 s[4:5], s[0:1]
	s_cbranch_execz .LBB0_18
; %bb.17:
	v_add_f32_e32 v18, v24, v25
	v_add_f32_e32 v10, v7, v24
	v_fmac_f32_e32 v7, -0.5, v18
	v_sub_f32_e32 v18, v22, v23
	v_mov_b32_e32 v22, v7
	s_movk_i32 s0, 0x84
	v_fmac_f32_e32 v22, 0x3f5db3d7, v18
	v_fmac_f32_e32 v7, 0xbf5db3d7, v18
	v_mad_u32_u24 v18, v19, s0, 0
	v_mov_b32_e32 v19, 2
	v_lshlrev_b32_sdwa v19, v19, v20 dst_sel:DWORD dst_unused:UNUSED_PAD src0_sel:DWORD src1_sel:BYTE_0
	v_add_f32_e32 v10, v10, v25
	v_add3_u32 v18, v18, v19, v29
	ds_write2_b32 v18, v10, v22 offset1:11
	ds_write_b32 v18, v7 offset:88
.LBB0_18:
	s_or_b64 exec, exec, s[4:5]
	s_waitcnt lgkmcnt(0)
	s_barrier
	s_and_saveexec_b64 s[0:1], vcc
	s_cbranch_execz .LBB0_20
; %bb.19:
	v_mul_u32_u24_e32 v4, 10, v4
	v_lshlrev_b32_e32 v4, 3, v4
	global_load_dwordx4 v[22:25], v4, s[8:9] offset:240
	global_load_dwordx4 v[27:30], v4, s[8:9] offset:176
	;; [unrolled: 1-line block ×5, first 2 shown]
	v_add_u32_e32 v4, 0x400, v26
	ds_read2_b32 v[18:19], v38 offset0:33 offset1:66
	ds_read_b32 v49, v21
	v_add_u32_e32 v7, 0x200, v26
	ds_read2_b32 v[20:21], v26 offset0:99 offset1:132
	ds_read2_b32 v[35:36], v26 offset0:165 offset1:198
	;; [unrolled: 1-line block ×4, first 2 shown]
	s_mov_b32 s0, 0xbf75a155
	s_mov_b32 s1, 0x3f575c64
	s_mov_b32 s4, 0xbf27a4f4
	s_mov_b32 s5, 0x3ed4b147
	s_mov_b32 s6, 0xbe11bafb
	s_waitcnt vmcnt(4)
	v_mul_f32_e32 v4, v16, v25
	s_waitcnt vmcnt(3)
	v_mul_f32_e32 v7, v13, v28
	s_waitcnt lgkmcnt(5)
	v_mul_f32_e32 v26, v18, v28
	v_mul_f32_e32 v28, v14, v30
	;; [unrolled: 1-line block ×3, first 2 shown]
	s_waitcnt lgkmcnt(1)
	v_mul_f32_e32 v25, v38, v25
	v_mul_f32_e32 v10, v15, v23
	s_waitcnt vmcnt(2)
	v_mul_f32_e32 v50, v12, v34
	s_waitcnt lgkmcnt(0)
	v_mul_f32_e32 v34, v48, v34
	v_fma_f32 v18, v18, v27, -v7
	v_fmac_f32_e32 v30, v14, v29
	v_fma_f32 v14, v38, v24, -v4
	v_mul_f32_e32 v23, v37, v23
	s_waitcnt vmcnt(1)
	v_mul_f32_e32 v51, v8, v40
	v_mul_f32_e32 v52, v11, v32
	v_fma_f32 v19, v19, v29, -v28
	v_fmac_f32_e32 v25, v16, v24
	v_fma_f32 v16, v37, v22, -v10
	v_fmac_f32_e32 v34, v12, v33
	v_add_f32_e32 v12, v14, v18
	v_mul_f32_e32 v40, v20, v40
	v_mul_f32_e32 v53, v9, v42
	;; [unrolled: 1-line block ×3, first 2 shown]
	v_fmac_f32_e32 v26, v13, v27
	v_fmac_f32_e32 v23, v15, v22
	v_fma_f32 v15, v48, v33, -v50
	v_fma_f32 v20, v20, v39, -v51
	;; [unrolled: 1-line block ×3, first 2 shown]
	v_add_f32_e32 v13, v16, v19
	v_mul_f32_e32 v47, 0xbf75a155, v12
	v_mul_f32_e32 v42, v21, v42
	s_waitcnt vmcnt(0)
	v_mul_f32_e32 v54, v6, v46
	v_mul_f32_e32 v55, v5, v44
	;; [unrolled: 1-line block ×3, first 2 shown]
	v_fma_f32 v21, v21, v41, -v53
	v_fmac_f32_e32 v32, v11, v31
	v_sub_f32_e32 v28, v26, v25
	v_add_f32_e32 v31, v15, v20
	v_mul_f32_e32 v48, 0x3f575c64, v13
	v_mov_b32_e32 v4, v47
	v_mul_f32_e32 v46, v36, v46
	v_fmac_f32_e32 v40, v8, v39
	v_fma_f32 v24, v36, v45, -v54
	v_fma_f32 v27, v35, v43, -v55
	v_fmac_f32_e32 v44, v5, v43
	v_sub_f32_e32 v29, v30, v23
	v_add_f32_e32 v35, v22, v21
	v_mul_f32_e32 v50, 0xbf27a4f4, v31
	v_mov_b32_e32 v5, v48
	v_fmac_f32_e32 v4, 0x3e903f40, v28
	v_fmac_f32_e32 v42, v9, v41
	;; [unrolled: 1-line block ×3, first 2 shown]
	v_sub_f32_e32 v33, v40, v34
	v_add_f32_e32 v37, v24, v27
	v_mul_f32_e32 v51, 0x3ed4b147, v35
	v_mov_b32_e32 v6, v50
	v_fmac_f32_e32 v5, 0xbf0a6770, v29
	v_add_f32_e32 v4, v49, v4
	v_sub_f32_e32 v36, v42, v32
	v_sub_f32_e32 v41, v18, v14
	v_mul_f32_e32 v52, 0xbe11bafb, v37
	v_mov_b32_e32 v7, v51
	v_fmac_f32_e32 v6, 0x3f4178ce, v33
	v_add_f32_e32 v4, v4, v5
	v_sub_f32_e32 v38, v44, v46
	v_sub_f32_e32 v45, v19, v16
	v_mul_f32_e32 v53, 0xbe903f40, v41
	v_mov_b32_e32 v8, v52
	v_fmac_f32_e32 v7, 0xbf68dda4, v36
	v_add_f32_e32 v4, v4, v6
	v_add_f32_e32 v39, v25, v26
	v_mov_b32_e32 v9, v53
	v_fmac_f32_e32 v8, 0x3f7d64f0, v38
	v_add_f32_e32 v4, v4, v7
	v_mul_f32_e32 v54, 0x3f0a6770, v45
	v_sub_f32_e32 v56, v20, v15
	v_add_f32_e32 v43, v23, v30
	v_fmac_f32_e32 v9, 0xbf75a155, v39
	v_add_f32_e32 v5, v4, v8
	v_mov_b32_e32 v4, v54
	v_mul_f32_e32 v57, 0xbf4178ce, v56
	v_add_f32_e32 v9, v17, v9
	v_fmac_f32_e32 v4, 0x3f575c64, v43
	v_add_f32_e32 v55, v34, v40
	v_mov_b32_e32 v6, v57
	v_sub_f32_e32 v59, v21, v22
	v_add_f32_e32 v4, v9, v4
	v_fmac_f32_e32 v6, 0xbf27a4f4, v55
	v_mul_f32_e32 v60, 0x3f68dda4, v59
	v_add_f32_e32 v4, v4, v6
	v_add_f32_e32 v58, v32, v42
	v_mov_b32_e32 v6, v60
	v_sub_f32_e32 v62, v27, v24
	v_fmac_f32_e32 v6, 0x3ed4b147, v58
	v_mul_f32_e32 v63, 0xbf7d64f0, v62
	v_add_f32_e32 v4, v4, v6
	v_add_f32_e32 v61, v46, v44
	v_mov_b32_e32 v6, v63
	v_fmac_f32_e32 v6, 0xbe11bafb, v61
	v_mul_f32_e32 v64, 0xbf27a4f4, v12
	v_add_f32_e32 v4, v4, v6
	v_mov_b32_e32 v6, v64
	v_mul_f32_e32 v65, 0xbe11bafb, v13
	v_fmac_f32_e32 v6, 0x3f4178ce, v28
	v_mov_b32_e32 v7, v65
	v_add_f32_e32 v6, v49, v6
	v_fmac_f32_e32 v7, 0xbf7d64f0, v29
	v_mul_f32_e32 v66, 0x3f575c64, v31
	v_add_f32_e32 v6, v6, v7
	v_mov_b32_e32 v7, v66
	v_fmac_f32_e32 v7, 0x3f0a6770, v33
	v_mul_f32_e32 v67, 0xbf75a155, v35
	v_add_f32_e32 v6, v6, v7
	v_mov_b32_e32 v7, v67
	;; [unrolled: 4-line block ×3, first 2 shown]
	v_mul_f32_e32 v69, 0x3f7d64f0, v45
	v_fmac_f32_e32 v7, 0xbf27a4f4, v39
	v_mov_b32_e32 v8, v69
	v_add_f32_e32 v7, v17, v7
	v_fmac_f32_e32 v8, 0xbe11bafb, v43
	v_mul_f32_e32 v70, 0xbf0a6770, v56
	v_add_f32_e32 v7, v7, v8
	v_mov_b32_e32 v8, v70
	v_fmac_f32_e32 v8, 0x3f575c64, v55
	v_mul_f32_e32 v71, 0xbe903f40, v59
	v_add_f32_e32 v7, v7, v8
	v_mov_b32_e32 v8, v71
	;; [unrolled: 4-line block ×5, first 2 shown]
	v_mul_f32_e32 v75, 0xbf75a155, v13
	v_fmac_f32_e32 v8, 0x3f7d64f0, v28
	v_mov_b32_e32 v9, v75
	v_add_f32_e32 v8, v49, v8
	v_fmac_f32_e32 v9, 0xbe903f40, v29
	v_mul_f32_e32 v76, 0x3ed4b147, v31
	v_add_f32_e32 v8, v8, v9
	v_mov_b32_e32 v9, v76
	v_fmac_f32_e32 v9, 0xbf68dda4, v33
	v_mul_f32_e32 v77, 0x3f575c64, v35
	v_add_f32_e32 v8, v8, v9
	v_mov_b32_e32 v9, v77
	v_add_f32_e32 v18, v49, v18
	v_fmac_f32_e32 v9, 0x3f0a6770, v36
	v_mul_f32_e32 v78, 0xbf7d64f0, v41
	v_add_f32_e32 v18, v18, v19
	v_add_f32_e32 v8, v8, v9
	v_mov_b32_e32 v9, v78
	v_mul_f32_e32 v79, 0x3e903f40, v45
	v_add_f32_e32 v18, v18, v20
	v_fmac_f32_e32 v9, 0xbe11bafb, v39
	v_mov_b32_e32 v10, v79
	v_add_f32_e32 v18, v18, v21
	v_add_f32_e32 v9, v17, v9
	v_fmac_f32_e32 v10, 0xbf75a155, v43
	v_mul_f32_e32 v80, 0x3f68dda4, v56
	v_add_f32_e32 v18, v18, v27
	v_add_f32_e32 v9, v9, v10
	v_mov_b32_e32 v10, v80
	v_add_f32_e32 v18, v24, v18
	v_fmac_f32_e32 v10, 0x3ed4b147, v55
	v_mul_f32_e32 v81, 0xbf0a6770, v59
	v_add_f32_e32 v18, v22, v18
	v_add_f32_e32 v9, v9, v10
	v_mov_b32_e32 v10, v81
	v_add_f32_e32 v15, v15, v18
	v_fmac_f32_e32 v10, 0x3f575c64, v58
	v_mul_f32_e32 v82, 0xbf27a4f4, v37
	v_add_f32_e32 v15, v16, v15
	v_add_f32_e32 v16, v17, v26
	;; [unrolled: 1-line block ×3, first 2 shown]
	v_mov_b32_e32 v9, v82
	v_add_f32_e32 v16, v16, v30
	v_fmac_f32_e32 v9, 0x3f4178ce, v38
	v_mul_f32_e32 v83, 0xbf4178ce, v62
	v_add_f32_e32 v16, v16, v40
	v_add_f32_e32 v9, v8, v9
	v_mov_b32_e32 v8, v83
	v_add_f32_e32 v16, v16, v42
	v_fmac_f32_e32 v8, 0xbf27a4f4, v61
	v_mul_f32_e32 v84, 0x3ed4b147, v12
	v_add_f32_e32 v16, v16, v44
	v_add_f32_e32 v8, v10, v8
	v_mov_b32_e32 v10, v84
	v_mul_f32_e32 v85, 0xbf27a4f4, v13
	v_add_f32_e32 v16, v46, v16
	v_fmac_f32_e32 v10, 0x3f68dda4, v28
	v_mov_b32_e32 v11, v85
	v_add_f32_e32 v16, v32, v16
	v_add_f32_e32 v10, v49, v10
	v_fmac_f32_e32 v11, 0x3f4178ce, v29
	v_mul_f32_e32 v86, 0xbf75a155, v31
	v_add_f32_e32 v16, v34, v16
	v_add_f32_e32 v10, v10, v11
	v_mov_b32_e32 v11, v86
	v_add_f32_e32 v16, v23, v16
	v_fmac_f32_e32 v47, 0xbe903f40, v28
	v_fmac_f32_e32 v11, 0xbe903f40, v33
	v_mul_f32_e32 v87, 0xbe11bafb, v35
	v_add_f32_e32 v15, v14, v15
	v_add_f32_e32 v14, v25, v16
	;; [unrolled: 1-line block ×3, first 2 shown]
	v_fmac_f32_e32 v48, 0x3f0a6770, v29
	v_fma_f32 v18, v39, s0, -v53
	v_add_f32_e32 v10, v10, v11
	v_mov_b32_e32 v11, v87
	v_add_f32_e32 v16, v16, v48
	v_fmac_f32_e32 v50, 0xbf4178ce, v33
	v_add_f32_e32 v18, v17, v18
	v_fma_f32 v19, v43, s1, -v54
	v_fmac_f32_e32 v11, 0xbf7d64f0, v36
	v_mul_f32_e32 v88, 0xbf68dda4, v41
	v_add_f32_e32 v16, v16, v50
	v_fmac_f32_e32 v51, 0x3f68dda4, v36
	v_add_f32_e32 v18, v18, v19
	v_fma_f32 v19, v55, s4, -v57
	v_add_f32_e32 v10, v10, v11
	v_mov_b32_e32 v11, v88
	v_mul_f32_e32 v89, 0xbf4178ce, v45
	v_add_f32_e32 v16, v16, v51
	v_add_f32_e32 v18, v18, v19
	v_fma_f32 v19, v58, s5, -v60
	v_fmac_f32_e32 v52, 0xbf7d64f0, v38
	v_fmac_f32_e32 v11, 0x3ed4b147, v39
	v_mov_b32_e32 v90, v89
	v_add_f32_e32 v18, v18, v19
	v_add_f32_e32 v19, v16, v52
	v_fma_f32 v16, v61, s6, -v63
	v_fmac_f32_e32 v64, 0xbf4178ce, v28
	v_add_f32_e32 v11, v17, v11
	v_fmac_f32_e32 v90, 0xbf27a4f4, v43
	v_add_f32_e32 v18, v18, v16
	v_add_f32_e32 v16, v49, v64
	v_fmac_f32_e32 v65, 0x3f7d64f0, v29
	v_fma_f32 v20, v39, s4, -v68
	v_add_f32_e32 v11, v11, v90
	v_mul_f32_e32 v90, 0x3e903f40, v56
	v_add_f32_e32 v16, v16, v65
	v_fmac_f32_e32 v66, 0xbf0a6770, v33
	v_add_f32_e32 v20, v17, v20
	v_fma_f32 v21, v43, s6, -v69
	v_mov_b32_e32 v91, v90
	v_add_f32_e32 v16, v16, v66
	v_fmac_f32_e32 v67, 0xbe903f40, v36
	v_add_f32_e32 v20, v20, v21
	v_fma_f32 v21, v55, s1, -v70
	v_fmac_f32_e32 v91, 0xbf75a155, v55
	v_add_f32_e32 v16, v16, v67
	v_add_f32_e32 v20, v20, v21
	v_fma_f32 v21, v58, s0, -v71
	v_fmac_f32_e32 v72, 0x3f68dda4, v38
	v_add_f32_e32 v11, v11, v91
	v_mul_f32_e32 v91, 0x3f7d64f0, v59
	v_add_f32_e32 v20, v20, v21
	v_add_f32_e32 v21, v16, v72
	v_fma_f32 v16, v61, s5, -v73
	v_fmac_f32_e32 v74, 0xbf7d64f0, v28
	v_mov_b32_e32 v92, v91
	v_add_f32_e32 v20, v20, v16
	v_add_f32_e32 v16, v49, v74
	v_fmac_f32_e32 v75, 0x3e903f40, v29
	v_fmac_f32_e32 v92, 0xbe11bafb, v58
	v_mul_f32_e32 v93, 0x3f575c64, v37
	v_add_f32_e32 v16, v16, v75
	v_fmac_f32_e32 v76, 0x3f68dda4, v33
	v_add_f32_e32 v92, v11, v92
	v_mov_b32_e32 v11, v93
	v_add_f32_e32 v16, v16, v76
	v_fmac_f32_e32 v77, 0xbf0a6770, v36
	v_fmac_f32_e32 v11, 0xbf0a6770, v38
	v_mul_f32_e32 v94, 0x3f0a6770, v62
	v_add_f32_e32 v16, v16, v77
	v_fmac_f32_e32 v82, 0xbf4178ce, v38
	v_add_f32_e32 v11, v10, v11
	v_mov_b32_e32 v10, v94
	v_add_f32_e32 v23, v16, v82
	v_fma_f32 v16, v39, s6, -v78
	v_fmac_f32_e32 v10, 0x3f575c64, v61
	v_add_f32_e32 v16, v17, v16
	v_fma_f32 v22, v43, s0, -v79
	v_add_f32_e32 v10, v92, v10
	v_mul_f32_e32 v92, 0x3f575c64, v12
	v_add_f32_e32 v16, v16, v22
	v_fma_f32 v22, v55, s5, -v80
	v_mov_b32_e32 v12, v92
	v_mul_f32_e32 v95, 0x3ed4b147, v13
	v_add_f32_e32 v16, v16, v22
	v_fma_f32 v22, v58, s1, -v81
	v_fmac_f32_e32 v12, 0x3f0a6770, v28
	v_mov_b32_e32 v13, v95
	v_add_f32_e32 v16, v16, v22
	v_fma_f32 v22, v61, s4, -v83
	v_fmac_f32_e32 v84, 0xbf68dda4, v28
	v_add_f32_e32 v12, v49, v12
	v_fmac_f32_e32 v13, 0x3f68dda4, v29
	v_mul_f32_e32 v31, 0xbe11bafb, v31
	v_add_f32_e32 v22, v16, v22
	v_add_f32_e32 v16, v49, v84
	v_fmac_f32_e32 v85, 0xbf4178ce, v29
	v_add_f32_e32 v12, v12, v13
	v_mov_b32_e32 v13, v31
	v_add_f32_e32 v16, v16, v85
	v_fmac_f32_e32 v86, 0x3e903f40, v33
	v_fmac_f32_e32 v13, 0x3f7d64f0, v33
	v_mul_f32_e32 v35, 0xbf27a4f4, v35
	v_add_f32_e32 v16, v16, v86
	v_fmac_f32_e32 v87, 0x3f7d64f0, v36
	v_add_f32_e32 v12, v12, v13
	v_mov_b32_e32 v13, v35
	v_add_f32_e32 v16, v16, v87
	v_fmac_f32_e32 v93, 0x3f0a6770, v38
	v_fmac_f32_e32 v13, 0x3f4178ce, v36
	v_mul_f32_e32 v41, 0xbf0a6770, v41
	v_add_f32_e32 v25, v16, v93
	v_fma_f32 v16, v39, s5, -v88
	v_add_f32_e32 v12, v12, v13
	v_mov_b32_e32 v13, v41
	v_mul_f32_e32 v45, 0xbf68dda4, v45
	v_add_f32_e32 v16, v17, v16
	v_fma_f32 v24, v43, s4, -v89
	v_fmac_f32_e32 v13, 0x3f575c64, v39
	v_mov_b32_e32 v96, v45
	v_add_f32_e32 v16, v16, v24
	v_fma_f32 v24, v55, s0, -v90
	v_add_f32_e32 v13, v17, v13
	v_fmac_f32_e32 v96, 0x3ed4b147, v43
	v_mul_f32_e32 v56, 0xbf7d64f0, v56
	v_add_f32_e32 v16, v16, v24
	v_fma_f32 v24, v58, s6, -v91
	v_add_f32_e32 v13, v13, v96
	v_mov_b32_e32 v96, v56
	v_add_f32_e32 v16, v16, v24
	v_fma_f32 v24, v61, s1, -v94
	v_fmac_f32_e32 v92, 0xbf0a6770, v28
	v_fmac_f32_e32 v96, 0xbe11bafb, v55
	v_mul_f32_e32 v59, 0xbf4178ce, v59
	v_add_f32_e32 v24, v16, v24
	v_add_f32_e32 v16, v49, v92
	v_fmac_f32_e32 v95, 0xbf68dda4, v29
	v_add_f32_e32 v13, v13, v96
	v_mov_b32_e32 v96, v59
	v_add_f32_e32 v16, v16, v95
	v_fmac_f32_e32 v31, 0xbf7d64f0, v33
	v_fmac_f32_e32 v96, 0xbf27a4f4, v58
	v_mul_f32_e32 v37, 0xbf75a155, v37
	v_add_f32_e32 v16, v16, v31
	v_fmac_f32_e32 v35, 0xbf4178ce, v36
	v_add_f32_e32 v96, v13, v96
	v_mov_b32_e32 v13, v37
	v_add_f32_e32 v16, v16, v35
	v_fmac_f32_e32 v37, 0xbe903f40, v38
	v_add_f32_e32 v27, v16, v37
	v_fma_f32 v16, v39, s1, -v41
	v_add_f32_e32 v16, v17, v16
	v_fma_f32 v17, v43, s5, -v45
	;; [unrolled: 2-line block ×3, first 2 shown]
	v_mul_f32_e32 v62, 0xbe903f40, v62
	v_add_f32_e32 v16, v16, v17
	v_fma_f32 v17, v58, s4, -v59
	v_add_f32_e32 v16, v16, v17
	v_fma_f32 v17, v61, s0, -v62
	v_add_f32_e32 v26, v16, v17
	v_mov_b32_e32 v16, s3
	v_add_co_u32_e32 v17, vcc, s2, v0
	v_addc_co_u32_e32 v16, vcc, v16, v1, vcc
	v_lshlrev_b64 v[0:1], 3, v[2:3]
	v_fmac_f32_e32 v13, 0x3e903f40, v38
	v_add_f32_e32 v13, v12, v13
	v_mov_b32_e32 v12, v62
	v_add_co_u32_e32 v0, vcc, v17, v0
	v_fmac_f32_e32 v12, 0xbf75a155, v61
	v_addc_co_u32_e32 v1, vcc, v16, v1, vcc
	v_add_f32_e32 v12, v96, v12
	global_store_dwordx2 v[0:1], v[14:15], off
	global_store_dwordx2 v[0:1], v[12:13], off offset:264
	global_store_dwordx2 v[0:1], v[10:11], off offset:528
	;; [unrolled: 1-line block ×10, first 2 shown]
.LBB0_20:
	s_endpgm
	.section	.rodata,"a",@progbits
	.p2align	6, 0x0
	.amdhsa_kernel fft_rtc_back_len363_factors_11_3_11_wgs_99_tpt_33_halfLds_sp_ip_CI_unitstride_sbrr_dirReg
		.amdhsa_group_segment_fixed_size 0
		.amdhsa_private_segment_fixed_size 0
		.amdhsa_kernarg_size 88
		.amdhsa_user_sgpr_count 6
		.amdhsa_user_sgpr_private_segment_buffer 1
		.amdhsa_user_sgpr_dispatch_ptr 0
		.amdhsa_user_sgpr_queue_ptr 0
		.amdhsa_user_sgpr_kernarg_segment_ptr 1
		.amdhsa_user_sgpr_dispatch_id 0
		.amdhsa_user_sgpr_flat_scratch_init 0
		.amdhsa_user_sgpr_private_segment_size 0
		.amdhsa_uses_dynamic_stack 0
		.amdhsa_system_sgpr_private_segment_wavefront_offset 0
		.amdhsa_system_sgpr_workgroup_id_x 1
		.amdhsa_system_sgpr_workgroup_id_y 0
		.amdhsa_system_sgpr_workgroup_id_z 0
		.amdhsa_system_sgpr_workgroup_info 0
		.amdhsa_system_vgpr_workitem_id 0
		.amdhsa_next_free_vgpr 97
		.amdhsa_next_free_sgpr 22
		.amdhsa_reserve_vcc 1
		.amdhsa_reserve_flat_scratch 0
		.amdhsa_float_round_mode_32 0
		.amdhsa_float_round_mode_16_64 0
		.amdhsa_float_denorm_mode_32 3
		.amdhsa_float_denorm_mode_16_64 3
		.amdhsa_dx10_clamp 1
		.amdhsa_ieee_mode 1
		.amdhsa_fp16_overflow 0
		.amdhsa_exception_fp_ieee_invalid_op 0
		.amdhsa_exception_fp_denorm_src 0
		.amdhsa_exception_fp_ieee_div_zero 0
		.amdhsa_exception_fp_ieee_overflow 0
		.amdhsa_exception_fp_ieee_underflow 0
		.amdhsa_exception_fp_ieee_inexact 0
		.amdhsa_exception_int_div_zero 0
	.end_amdhsa_kernel
	.text
.Lfunc_end0:
	.size	fft_rtc_back_len363_factors_11_3_11_wgs_99_tpt_33_halfLds_sp_ip_CI_unitstride_sbrr_dirReg, .Lfunc_end0-fft_rtc_back_len363_factors_11_3_11_wgs_99_tpt_33_halfLds_sp_ip_CI_unitstride_sbrr_dirReg
                                        ; -- End function
	.section	.AMDGPU.csdata,"",@progbits
; Kernel info:
; codeLenInByte = 7156
; NumSgprs: 26
; NumVgprs: 97
; ScratchSize: 0
; MemoryBound: 0
; FloatMode: 240
; IeeeMode: 1
; LDSByteSize: 0 bytes/workgroup (compile time only)
; SGPRBlocks: 3
; VGPRBlocks: 24
; NumSGPRsForWavesPerEU: 26
; NumVGPRsForWavesPerEU: 97
; Occupancy: 2
; WaveLimiterHint : 1
; COMPUTE_PGM_RSRC2:SCRATCH_EN: 0
; COMPUTE_PGM_RSRC2:USER_SGPR: 6
; COMPUTE_PGM_RSRC2:TRAP_HANDLER: 0
; COMPUTE_PGM_RSRC2:TGID_X_EN: 1
; COMPUTE_PGM_RSRC2:TGID_Y_EN: 0
; COMPUTE_PGM_RSRC2:TGID_Z_EN: 0
; COMPUTE_PGM_RSRC2:TIDIG_COMP_CNT: 0
	.type	__hip_cuid_5abf6df21135a697,@object ; @__hip_cuid_5abf6df21135a697
	.section	.bss,"aw",@nobits
	.globl	__hip_cuid_5abf6df21135a697
__hip_cuid_5abf6df21135a697:
	.byte	0                               ; 0x0
	.size	__hip_cuid_5abf6df21135a697, 1

	.ident	"AMD clang version 19.0.0git (https://github.com/RadeonOpenCompute/llvm-project roc-6.4.0 25133 c7fe45cf4b819c5991fe208aaa96edf142730f1d)"
	.section	".note.GNU-stack","",@progbits
	.addrsig
	.addrsig_sym __hip_cuid_5abf6df21135a697
	.amdgpu_metadata
---
amdhsa.kernels:
  - .args:
      - .actual_access:  read_only
        .address_space:  global
        .offset:         0
        .size:           8
        .value_kind:     global_buffer
      - .offset:         8
        .size:           8
        .value_kind:     by_value
      - .actual_access:  read_only
        .address_space:  global
        .offset:         16
        .size:           8
        .value_kind:     global_buffer
      - .actual_access:  read_only
        .address_space:  global
        .offset:         24
        .size:           8
        .value_kind:     global_buffer
      - .offset:         32
        .size:           8
        .value_kind:     by_value
      - .actual_access:  read_only
        .address_space:  global
        .offset:         40
        .size:           8
        .value_kind:     global_buffer
      - .actual_access:  read_only
        .address_space:  global
        .offset:         48
        .size:           8
        .value_kind:     global_buffer
      - .offset:         56
        .size:           4
        .value_kind:     by_value
      - .actual_access:  read_only
        .address_space:  global
        .offset:         64
        .size:           8
        .value_kind:     global_buffer
      - .actual_access:  read_only
        .address_space:  global
        .offset:         72
        .size:           8
        .value_kind:     global_buffer
      - .address_space:  global
        .offset:         80
        .size:           8
        .value_kind:     global_buffer
    .group_segment_fixed_size: 0
    .kernarg_segment_align: 8
    .kernarg_segment_size: 88
    .language:       OpenCL C
    .language_version:
      - 2
      - 0
    .max_flat_workgroup_size: 99
    .name:           fft_rtc_back_len363_factors_11_3_11_wgs_99_tpt_33_halfLds_sp_ip_CI_unitstride_sbrr_dirReg
    .private_segment_fixed_size: 0
    .sgpr_count:     26
    .sgpr_spill_count: 0
    .symbol:         fft_rtc_back_len363_factors_11_3_11_wgs_99_tpt_33_halfLds_sp_ip_CI_unitstride_sbrr_dirReg.kd
    .uniform_work_group_size: 1
    .uses_dynamic_stack: false
    .vgpr_count:     97
    .vgpr_spill_count: 0
    .wavefront_size: 64
amdhsa.target:   amdgcn-amd-amdhsa--gfx906
amdhsa.version:
  - 1
  - 2
...

	.end_amdgpu_metadata
